;; amdgpu-corpus repo=ROCm/rocFFT kind=compiled arch=gfx950 opt=O3
	.text
	.amdgcn_target "amdgcn-amd-amdhsa--gfx950"
	.amdhsa_code_object_version 6
	.protected	bluestein_single_fwd_len128_dim1_dp_op_CI_CI ; -- Begin function bluestein_single_fwd_len128_dim1_dp_op_CI_CI
	.globl	bluestein_single_fwd_len128_dim1_dp_op_CI_CI
	.p2align	8
	.type	bluestein_single_fwd_len128_dim1_dp_op_CI_CI,@function
bluestein_single_fwd_len128_dim1_dp_op_CI_CI: ; @bluestein_single_fwd_len128_dim1_dp_op_CI_CI
; %bb.0:
	s_load_dwordx4 s[8:11], s[0:1], 0x28
	v_lshrrev_b32_e32 v1, 4, v0
	v_lshl_or_b32 v92, s2, 4, v1
	v_mov_b32_e32 v93, 0
	s_waitcnt lgkmcnt(0)
	v_cmp_gt_u64_e32 vcc, s[8:9], v[92:93]
	s_and_saveexec_b64 s[2:3], vcc
	s_cbranch_execz .LBB0_15
; %bb.1:
	s_load_dwordx2 s[8:9], s[0:1], 0x0
	s_load_dwordx2 s[12:13], s[0:1], 0x38
	v_and_b32_e32 v93, 15, v0
	v_lshlrev_b32_e32 v71, 7, v1
	v_cmp_gt_u32_e32 vcc, 8, v93
	v_lshlrev_b32_e32 v95, 4, v93
	v_or_b32_e32 v70, v71, v93
	v_or_b32_e32 v98, 8, v93
	v_add_lshl_u32 v94, v71, v93, 4
	v_or_b32_e32 v99, 24, v93
	v_or_b32_e32 v97, 40, v93
	;; [unrolled: 1-line block ×3, first 2 shown]
	s_and_saveexec_b64 s[2:3], vcc
	s_cbranch_execz .LBB0_3
; %bb.2:
	s_load_dwordx2 s[4:5], s[0:1], 0x18
	v_mov_b32_e32 v0, s10
	v_mov_b32_e32 v1, s11
	v_or_b32_e32 v91, 0x58, v93
	v_or_b32_e32 v115, 0x68, v93
	s_waitcnt lgkmcnt(0)
	s_load_dwordx4 s[4:7], s[4:5], 0x0
	v_or_b32_e32 v135, 0x78, v93
	v_lshlrev_b32_e32 v144, 4, v70
	s_waitcnt lgkmcnt(0)
	v_mad_u64_u32 v[2:3], s[10:11], s6, v92, 0
	v_mov_b32_e32 v6, v3
	v_mad_u64_u32 v[6:7], s[6:7], s7, v92, v[6:7]
	v_mad_u64_u32 v[4:5], s[10:11], s4, v93, 0
	v_mov_b32_e32 v3, v6
	v_mov_b32_e32 v8, v5
	v_lshl_add_u64 v[68:69], v[2:3], 4, v[0:1]
	v_mad_u64_u32 v[0:1], s[6:7], s4, v98, 0
	v_mad_u64_u32 v[6:7], s[6:7], s5, v93, v[8:9]
	v_mov_b32_e32 v2, v1
	v_mov_b32_e32 v5, v6
	v_mad_u64_u32 v[2:3], s[6:7], s5, v98, v[2:3]
	v_lshl_add_u64 v[16:17], v[4:5], 4, v[68:69]
	v_mov_b32_e32 v1, v2
	s_lshl_b64 s[6:7], s[4:5], 8
	v_lshl_add_u64 v[18:19], v[0:1], 4, v[68:69]
	global_load_dwordx4 v[4:7], v[16:17], off
	global_load_dwordx4 v[0:3], v[18:19], off
	global_load_dwordx4 v[8:11], v95, s[8:9]
	global_load_dwordx4 v[12:15], v95, s[8:9] offset:128
	v_lshl_add_u64 v[32:33], v[16:17], 0, s[6:7]
	v_mad_u64_u32 v[16:17], s[10:11], s4, v99, 0
	v_mov_b32_e32 v18, v17
	v_mad_u64_u32 v[18:19], s[10:11], s5, v99, v[18:19]
	v_mov_b32_e32 v17, v18
	v_lshl_add_u64 v[34:35], v[16:17], 4, v[68:69]
	global_load_dwordx4 v[20:23], v[32:33], off
	global_load_dwordx4 v[16:19], v[34:35], off
	global_load_dwordx4 v[24:27], v95, s[8:9] offset:256
	global_load_dwordx4 v[28:31], v95, s[8:9] offset:384
	v_lshl_add_u64 v[48:49], v[32:33], 0, s[6:7]
	v_mad_u64_u32 v[32:33], s[10:11], s4, v97, 0
	v_mad_u64_u32 v[56:57], s[10:11], s4, v96, 0
	v_mov_b32_e32 v34, v33
	v_mov_b32_e32 v58, v57
	v_mad_u64_u32 v[34:35], s[10:11], s5, v97, v[34:35]
	v_mad_u64_u32 v[58:59], s[10:11], s5, v96, v[58:59]
	v_mov_b32_e32 v33, v34
	v_mov_b32_e32 v57, v58
	v_lshl_add_u64 v[50:51], v[32:33], 4, v[68:69]
	v_lshl_add_u64 v[64:65], v[48:49], 0, s[6:7]
	;; [unrolled: 1-line block ×3, first 2 shown]
	global_load_dwordx4 v[36:39], v[48:49], off
	global_load_dwordx4 v[32:35], v[50:51], off
	global_load_dwordx4 v[40:43], v95, s[8:9] offset:512
	global_load_dwordx4 v[44:47], v95, s[8:9] offset:640
	s_nop 0
	global_load_dwordx4 v[48:51], v95, s[8:9] offset:768
	global_load_dwordx4 v[52:55], v95, s[8:9] offset:896
	global_load_dwordx4 v[60:63], v[64:65], off
	global_load_dwordx4 v[56:59], v[66:67], off
	v_or_b32_e32 v67, 0x48, v93
	v_lshl_add_u64 v[84:85], v[64:65], 0, s[6:7]
	v_mad_u64_u32 v[64:65], s[10:11], s4, v67, 0
	v_mov_b32_e32 v66, v65
	v_mad_u64_u32 v[66:67], s[10:11], s5, v67, v[66:67]
	v_mov_b32_e32 v65, v66
	v_mad_u64_u32 v[88:89], s[10:11], s4, v91, 0
	v_lshl_add_u64 v[86:87], v[64:65], 4, v[68:69]
	global_load_dwordx4 v[72:75], v[84:85], off
	global_load_dwordx4 v[64:67], v[86:87], off
	global_load_dwordx4 v[76:79], v95, s[8:9] offset:1024
	global_load_dwordx4 v[80:83], v95, s[8:9] offset:1152
	v_mov_b32_e32 v90, v89
	v_mad_u64_u32 v[90:91], s[10:11], s5, v91, v[90:91]
	v_lshl_add_u64 v[108:109], v[84:85], 0, s[6:7]
	v_mov_b32_e32 v89, v90
	global_load_dwordx4 v[84:87], v[108:109], off
	v_lshl_add_u64 v[110:111], v[88:89], 4, v[68:69]
	global_load_dwordx4 v[88:91], v[110:111], off
	global_load_dwordx4 v[100:103], v95, s[8:9] offset:1280
	global_load_dwordx4 v[104:107], v95, s[8:9] offset:1408
	v_mad_u64_u32 v[112:113], s[10:11], s4, v115, 0
	v_lshl_add_u64 v[124:125], v[108:109], 0, s[6:7]
	v_mov_b32_e32 v114, v113
	global_load_dwordx4 v[108:111], v[124:125], off
	v_mad_u64_u32 v[114:115], s[10:11], s5, v115, v[114:115]
	v_mov_b32_e32 v113, v114
	v_lshl_add_u64 v[124:125], v[124:125], 0, s[6:7]
	v_mad_u64_u32 v[132:133], s[6:7], s4, v135, 0
	v_lshl_add_u64 v[126:127], v[112:113], 4, v[68:69]
	global_load_dwordx4 v[112:115], v95, s[8:9] offset:1536
	global_load_dwordx4 v[116:119], v[126:127], off
	global_load_dwordx4 v[120:123], v95, s[8:9] offset:1664
	v_mov_b32_e32 v134, v133
	v_mad_u64_u32 v[134:135], s[4:5], s5, v135, v[134:135]
	global_load_dwordx4 v[124:127], v[124:125], off
	v_mov_b32_e32 v133, v134
	global_load_dwordx4 v[128:131], v95, s[8:9] offset:1792
	v_lshl_add_u64 v[68:69], v[132:133], 4, v[68:69]
	global_load_dwordx4 v[132:135], v[68:69], off
	global_load_dwordx4 v[136:139], v95, s[8:9] offset:1920
	s_waitcnt vmcnt(29)
	v_mul_f64 v[140:141], v[6:7], v[10:11]
	v_mul_f64 v[68:69], v[4:5], v[10:11]
	s_waitcnt vmcnt(28)
	v_mul_f64 v[10:11], v[2:3], v[14:15]
	v_mul_f64 v[14:15], v[0:1], v[14:15]
	v_fmac_f64_e32 v[10:11], v[0:1], v[12:13]
	v_fma_f64 v[12:13], v[2:3], v[12:13], -v[14:15]
	v_fmac_f64_e32 v[140:141], v[4:5], v[8:9]
	v_fma_f64 v[142:143], v[6:7], v[8:9], -v[68:69]
	ds_write_b128 v144, v[140:143]
	ds_write_b128 v94, v[10:13] offset:128
	s_waitcnt vmcnt(25)
	v_mul_f64 v[0:1], v[22:23], v[26:27]
	v_mul_f64 v[2:3], v[20:21], v[26:27]
	s_waitcnt vmcnt(24)
	v_mul_f64 v[4:5], v[18:19], v[30:31]
	v_mul_f64 v[6:7], v[16:17], v[30:31]
	v_fmac_f64_e32 v[0:1], v[20:21], v[24:25]
	v_fma_f64 v[2:3], v[22:23], v[24:25], -v[2:3]
	v_fmac_f64_e32 v[4:5], v[16:17], v[28:29]
	v_fma_f64 v[6:7], v[18:19], v[28:29], -v[6:7]
	ds_write_b128 v94, v[0:3] offset:256
	ds_write_b128 v94, v[4:7] offset:384
	s_waitcnt vmcnt(21)
	v_mul_f64 v[8:9], v[38:39], v[42:43]
	v_mul_f64 v[10:11], v[36:37], v[42:43]
	s_waitcnt vmcnt(20)
	v_mul_f64 v[12:13], v[34:35], v[46:47]
	v_mul_f64 v[14:15], v[32:33], v[46:47]
	;; [unrolled: 3-line block ×3, first 2 shown]
	v_fmac_f64_e32 v[8:9], v[36:37], v[40:41]
	v_fma_f64 v[10:11], v[38:39], v[40:41], -v[10:11]
	v_fmac_f64_e32 v[12:13], v[32:33], v[44:45]
	v_fma_f64 v[14:15], v[34:35], v[44:45], -v[14:15]
	;; [unrolled: 2-line block ×3, first 2 shown]
	ds_write_b128 v94, v[8:11] offset:512
	ds_write_b128 v94, v[12:15] offset:640
	;; [unrolled: 1-line block ×3, first 2 shown]
	s_waitcnt vmcnt(16)
	v_mul_f64 v[0:1], v[58:59], v[54:55]
	v_mul_f64 v[2:3], v[56:57], v[54:55]
	v_fmac_f64_e32 v[0:1], v[56:57], v[52:53]
	v_fma_f64 v[2:3], v[58:59], v[52:53], -v[2:3]
	ds_write_b128 v94, v[0:3] offset:896
	s_waitcnt vmcnt(13)
	v_mul_f64 v[0:1], v[74:75], v[78:79]
	v_mul_f64 v[2:3], v[72:73], v[78:79]
	v_fmac_f64_e32 v[0:1], v[72:73], v[76:77]
	v_fma_f64 v[2:3], v[74:75], v[76:77], -v[2:3]
	ds_write_b128 v94, v[0:3] offset:1024
	;; [unrolled: 6-line block ×9, first 2 shown]
.LBB0_3:
	s_or_b64 exec, exec, s[2:3]
	s_load_dwordx2 s[2:3], s[0:1], 0x20
	s_load_dwordx2 s[4:5], s[0:1], 0x8
	s_waitcnt lgkmcnt(0)
	s_barrier
	s_waitcnt lgkmcnt(0)
                                        ; implicit-def: $vgpr34_vgpr35
                                        ; implicit-def: $vgpr2_vgpr3
                                        ; implicit-def: $vgpr56_vgpr57
                                        ; implicit-def: $vgpr60_vgpr61
                                        ; implicit-def: $vgpr48_vgpr49
                                        ; implicit-def: $vgpr52_vgpr53
                                        ; implicit-def: $vgpr40_vgpr41
                                        ; implicit-def: $vgpr44_vgpr45
                                        ; implicit-def: $vgpr36_vgpr37
                                        ; implicit-def: $vgpr24_vgpr25
                                        ; implicit-def: $vgpr28_vgpr29
                                        ; implicit-def: $vgpr16_vgpr17
                                        ; implicit-def: $vgpr20_vgpr21
                                        ; implicit-def: $vgpr8_vgpr9
                                        ; implicit-def: $vgpr12_vgpr13
                                        ; implicit-def: $vgpr4_vgpr5
	s_and_saveexec_b64 s[0:1], vcc
	s_cbranch_execz .LBB0_5
; %bb.4:
	v_lshlrev_b32_e32 v56, 4, v70
	ds_read_b128 v[0:3], v56
	ds_read_b128 v[4:7], v56 offset:128
	ds_read_b128 v[12:15], v56 offset:256
	;; [unrolled: 1-line block ×15, first 2 shown]
.LBB0_5:
	s_or_b64 exec, exec, s[0:1]
	s_waitcnt lgkmcnt(7)
	v_add_f64 v[36:37], v[0:1], -v[36:37]
	v_add_f64 v[38:39], v[2:3], -v[38:39]
	s_waitcnt lgkmcnt(3)
	v_add_f64 v[52:53], v[20:21], -v[52:53]
	v_add_f64 v[54:55], v[22:23], -v[54:55]
	;; [unrolled: 1-line block ×4, first 2 shown]
	s_waitcnt lgkmcnt(1)
	v_add_f64 v[60:61], v[28:29], -v[60:61]
	v_add_f64 v[62:63], v[30:31], -v[62:63]
	s_mov_b32 s6, 0x667f3bcd
	v_fma_f64 v[0:1], v[0:1], 2.0, -v[36:37]
	v_fma_f64 v[2:3], v[2:3], 2.0, -v[38:39]
	;; [unrolled: 1-line block ×8, first 2 shown]
	v_add_f64 v[32:33], v[4:5], -v[32:33]
	v_add_f64 v[34:35], v[6:7], -v[34:35]
	v_add_f64 v[48:49], v[16:17], -v[48:49]
	v_add_f64 v[50:51], v[18:19], -v[50:51]
	v_add_f64 v[40:41], v[8:9], -v[40:41]
	v_add_f64 v[42:43], v[10:11], -v[42:43]
	s_waitcnt lgkmcnt(0)
	v_add_f64 v[56:57], v[24:25], -v[56:57]
	v_add_f64 v[58:59], v[26:27], -v[58:59]
	;; [unrolled: 1-line block ×3, first 2 shown]
	v_add_f64 v[52:53], v[38:39], v[52:53]
	v_add_f64 v[66:67], v[44:45], -v[62:63]
	v_add_f64 v[68:69], v[60:61], v[46:47]
	s_mov_b32 s7, 0xbfe6a09e
	s_mov_b32 s11, 0x3fe6a09e
	;; [unrolled: 1-line block ×3, first 2 shown]
	v_fma_f64 v[16:17], v[16:17], 2.0, -v[48:49]
	v_fma_f64 v[18:19], v[18:19], 2.0, -v[50:51]
	;; [unrolled: 1-line block ×6, first 2 shown]
	v_add_f64 v[64:65], v[0:1], -v[20:21]
	v_add_f64 v[22:23], v[2:3], -v[22:23]
	;; [unrolled: 1-line block ×5, first 2 shown]
	v_add_f64 v[48:49], v[48:49], v[34:35]
	v_add_f64 v[58:59], v[40:41], -v[58:59]
	v_add_f64 v[56:57], v[56:57], v[42:43]
	v_fma_f64 v[60:61], s[10:11], v[66:67], v[54:55]
	v_fma_f64 v[62:63], s[10:11], v[68:69], v[52:53]
	v_fma_f64 v[4:5], v[4:5], 2.0, -v[32:33]
	v_fma_f64 v[6:7], v[6:7], 2.0, -v[34:35]
	;; [unrolled: 1-line block ×12, first 2 shown]
	v_add_f64 v[80:81], v[8:9], -v[24:25]
	v_add_f64 v[82:83], v[10:11], -v[26:27]
	v_fma_f64 v[40:41], v[40:41], 2.0, -v[58:59]
	v_fma_f64 v[42:43], v[42:43], 2.0, -v[56:57]
	v_add_f64 v[26:27], v[22:23], v[28:29]
	v_fmac_f64_e32 v[60:61], s[6:7], v[68:69]
	v_fmac_f64_e32 v[62:63], s[10:11], v[66:67]
	v_add_f64 v[72:73], v[4:5], -v[16:17]
	v_add_f64 v[74:75], v[6:7], -v[18:19]
	v_fma_f64 v[84:85], v[8:9], 2.0, -v[80:81]
	v_add_f64 v[8:9], v[0:1], -v[12:13]
	v_add_f64 v[12:13], v[2:3], -v[14:15]
	v_fma_f64 v[16:17], s[6:7], v[44:45], v[36:37]
	v_fma_f64 v[20:21], s[6:7], v[46:47], v[38:39]
	v_add_f64 v[24:25], v[64:65], -v[30:31]
	v_fma_f64 v[14:15], v[22:23], 2.0, -v[26:27]
	v_fma_f64 v[18:19], v[54:55], 2.0, -v[60:61]
	;; [unrolled: 1-line block ×3, first 2 shown]
	v_fma_f64 v[52:53], s[6:7], v[40:41], v[32:33]
	v_fma_f64 v[54:55], s[6:7], v[42:43], v[34:35]
	v_fma_f64 v[86:87], v[10:11], 2.0, -v[82:83]
	v_fmac_f64_e32 v[16:17], s[6:7], v[46:47]
	v_fmac_f64_e32 v[20:21], s[10:11], v[44:45]
	v_fma_f64 v[10:11], v[64:65], 2.0, -v[24:25]
	v_fmac_f64_e32 v[52:53], s[6:7], v[42:43]
	v_fmac_f64_e32 v[54:55], s[10:11], v[40:41]
	v_add_f64 v[64:65], v[72:73], -v[82:83]
	s_mov_b32 s0, 0xcf328d46
	v_fma_f64 v[76:77], v[4:5], 2.0, -v[72:73]
	v_fma_f64 v[78:79], v[6:7], 2.0, -v[74:75]
	;; [unrolled: 1-line block ×6, first 2 shown]
	v_add_f64 v[66:67], v[80:81], v[74:75]
	v_fma_f64 v[44:45], v[72:73], 2.0, -v[64:65]
	v_fma_f64 v[68:69], s[10:11], v[58:59], v[50:51]
	v_fma_f64 v[72:73], s[10:11], v[56:57], v[48:49]
	s_mov_b32 s1, 0xbfed906b
	s_mov_b32 s14, 0xa6aea964
	v_fma_f64 v[46:47], v[74:75], 2.0, -v[66:67]
	v_fmac_f64_e32 v[68:69], s[6:7], v[56:57]
	v_fmac_f64_e32 v[72:73], s[10:11], v[58:59]
	v_fma_f64 v[32:33], s[0:1], v[40:41], v[4:5]
	v_fma_f64 v[34:35], s[0:1], v[42:43], v[6:7]
	s_mov_b32 s15, 0xbfd87de2
	s_mov_b32 s17, 0x3fd87de2
	;; [unrolled: 1-line block ×3, first 2 shown]
	v_fma_f64 v[50:51], v[50:51], 2.0, -v[68:69]
	v_fma_f64 v[48:49], v[48:49], 2.0, -v[72:73]
	v_fmac_f64_e32 v[32:33], s[14:15], v[42:43]
	v_fmac_f64_e32 v[34:35], s[16:17], v[40:41]
	v_fma_f64 v[40:41], s[6:7], v[44:45], v[10:11]
	v_fma_f64 v[42:43], s[6:7], v[46:47], v[14:15]
	v_fmac_f64_e32 v[40:41], s[6:7], v[46:47]
	v_fmac_f64_e32 v[42:43], s[10:11], v[44:45]
	v_fma_f64 v[44:45], s[14:15], v[50:51], v[18:19]
	v_fma_f64 v[46:47], s[14:15], v[48:49], v[22:23]
	s_mov_b32 s19, 0x3fed906b
	s_mov_b32 s18, s0
	v_add_f64 v[38:39], v[76:77], -v[84:85]
	v_add_f64 v[36:37], v[78:79], -v[86:87]
	v_fmac_f64_e32 v[44:45], s[0:1], v[48:49]
	v_fmac_f64_e32 v[46:47], s[18:19], v[50:51]
	v_fma_f64 v[48:49], s[16:17], v[52:53], v[16:17]
	v_fma_f64 v[50:51], s[16:17], v[54:55], v[20:21]
	v_fma_f64 v[0:1], v[0:1], 2.0, -v[8:9]
	v_fma_f64 v[2:3], v[2:3], 2.0, -v[12:13]
	;; [unrolled: 1-line block ×4, first 2 shown]
	v_fmac_f64_e32 v[48:49], s[0:1], v[54:55]
	v_fmac_f64_e32 v[50:51], s[18:19], v[52:53]
	v_fma_f64 v[52:53], s[10:11], v[64:65], v[24:25]
	v_fma_f64 v[54:55], s[10:11], v[66:67], v[26:27]
	;; [unrolled: 1-line block ×4, first 2 shown]
	v_add_f64 v[28:29], v[0:1], -v[28:29]
	v_add_f64 v[30:31], v[2:3], -v[30:31]
	;; [unrolled: 1-line block ×3, first 2 shown]
	v_add_f64 v[38:39], v[12:13], v[38:39]
	v_fmac_f64_e32 v[52:53], s[6:7], v[66:67]
	v_fmac_f64_e32 v[54:55], s[10:11], v[64:65]
	;; [unrolled: 1-line block ×4, first 2 shown]
	v_lshlrev_b32_e32 v101, 4, v71
	s_barrier
	s_and_saveexec_b64 s[0:1], vcc
	s_cbranch_execz .LBB0_7
; %bb.6:
	v_fma_f64 v[72:73], v[8:9], 2.0, -v[36:37]
	v_fma_f64 v[2:3], v[2:3], 2.0, -v[30:31]
	;; [unrolled: 1-line block ×3, first 2 shown]
	v_lshl_or_b32 v8, v93, 8, v101
	v_fma_f64 v[62:63], v[62:63], 2.0, -v[58:59]
	v_fma_f64 v[60:61], v[60:61], 2.0, -v[56:57]
	;; [unrolled: 1-line block ×13, first 2 shown]
	ds_write_b128 v8, v[0:3]
	ds_write_b128 v8, v[4:7] offset:16
	ds_write_b128 v8, v[10:13] offset:32
	;; [unrolled: 1-line block ×15, first 2 shown]
.LBB0_7:
	s_or_b64 exec, exec, s[0:1]
	s_movk_i32 s14, 0x70
	v_mov_b64_e32 v[0:1], s[4:5]
	v_lshlrev_b32_e32 v100, 4, v70
	v_mad_u64_u32 v[80:81], s[4:5], v93, s14, v[0:1]
	s_load_dwordx4 s[0:3], s[2:3], 0x0
	s_waitcnt lgkmcnt(0)
	s_barrier
	ds_read_b128 v[60:63], v100
	ds_read_b128 v[12:15], v100 offset:256
	ds_read_b128 v[16:19], v100 offset:512
	;; [unrolled: 1-line block ×7, first 2 shown]
	global_load_dwordx4 v[0:3], v[80:81], off offset:48
	global_load_dwordx4 v[4:7], v[80:81], off offset:32
	;; [unrolled: 1-line block ×3, first 2 shown]
	global_load_dwordx4 v[20:23], v[80:81], off
	s_waitcnt vmcnt(2) lgkmcnt(4)
	v_mul_f64 v[102:103], v[24:25], v[6:7]
	s_waitcnt vmcnt(1)
	v_mul_f64 v[88:89], v[16:17], v[10:11]
	s_waitcnt vmcnt(0)
	v_mul_f64 v[82:83], v[14:15], v[22:23]
	v_fma_f64 v[82:83], v[12:13], v[20:21], -v[82:83]
	v_mul_f64 v[84:85], v[12:13], v[22:23]
	v_mul_f64 v[12:13], v[18:19], v[10:11]
	v_fma_f64 v[86:87], v[16:17], v[8:9], -v[12:13]
	v_mul_f64 v[12:13], v[26:27], v[6:7]
	v_fma_f64 v[90:91], v[24:25], v[4:5], -v[12:13]
	s_waitcnt lgkmcnt(3)
	v_mul_f64 v[12:13], v[66:67], v[2:3]
	v_fmac_f64_e32 v[84:85], v[14:15], v[20:21]
	v_fmac_f64_e32 v[88:89], v[18:19], v[8:9]
	;; [unrolled: 1-line block ×3, first 2 shown]
	v_fma_f64 v[104:105], v[64:65], v[0:1], -v[12:13]
	global_load_dwordx4 v[12:15], v[80:81], off offset:96
	global_load_dwordx4 v[16:19], v[80:81], off offset:80
	;; [unrolled: 1-line block ×3, first 2 shown]
	v_mul_f64 v[64:65], v[64:65], v[2:3]
	v_fmac_f64_e32 v[64:65], v[66:67], v[0:1]
	v_add_f64 v[64:65], v[62:63], -v[64:65]
	v_fma_f64 v[62:63], v[62:63], 2.0, -v[64:65]
	s_waitcnt vmcnt(0) lgkmcnt(2)
	v_mul_f64 v[66:67], v[70:71], v[26:27]
	v_fma_f64 v[66:67], v[68:69], v[24:25], -v[66:67]
	v_mul_f64 v[68:69], v[68:69], v[26:27]
	v_fmac_f64_e32 v[68:69], v[70:71], v[24:25]
	s_waitcnt lgkmcnt(1)
	v_mul_f64 v[70:71], v[74:75], v[18:19]
	v_fma_f64 v[70:71], v[72:73], v[16:17], -v[70:71]
	v_mul_f64 v[72:73], v[72:73], v[18:19]
	v_fmac_f64_e32 v[72:73], v[74:75], v[16:17]
	s_waitcnt lgkmcnt(0)
	v_mul_f64 v[74:75], v[78:79], v[14:15]
	v_fma_f64 v[74:75], v[76:77], v[12:13], -v[74:75]
	v_mul_f64 v[76:77], v[76:77], v[14:15]
	v_fmac_f64_e32 v[76:77], v[78:79], v[12:13]
	v_add_f64 v[78:79], v[60:61], -v[104:105]
	v_add_f64 v[70:71], v[86:87], -v[70:71]
	;; [unrolled: 1-line block ×6, first 2 shown]
	v_fma_f64 v[60:61], v[60:61], 2.0, -v[78:79]
	v_fma_f64 v[80:81], v[86:87], 2.0, -v[70:71]
	;; [unrolled: 1-line block ×6, first 2 shown]
	v_add_f64 v[66:67], v[82:83], -v[66:67]
	v_add_f64 v[102:103], v[60:61], -v[80:81]
	;; [unrolled: 1-line block ×4, first 2 shown]
	v_fma_f64 v[82:83], v[82:83], 2.0, -v[66:67]
	v_add_f64 v[86:87], v[62:63], -v[86:87]
	v_add_f64 v[106:107], v[64:65], v[70:71]
	v_fma_f64 v[70:71], v[78:79], 2.0, -v[104:105]
	v_fma_f64 v[78:79], v[84:85], 2.0, -v[80:81]
	v_add_f64 v[84:85], v[66:67], -v[76:77]
	v_add_f64 v[108:109], v[68:69], v[74:75]
	v_fma_f64 v[62:63], v[62:63], 2.0, -v[86:87]
	v_fma_f64 v[72:73], v[64:65], 2.0, -v[106:107]
	v_add_f64 v[88:89], v[82:83], -v[88:89]
	v_fma_f64 v[74:75], v[66:67], 2.0, -v[84:85]
	v_fma_f64 v[68:69], v[68:69], 2.0, -v[108:109]
	;; [unrolled: 1-line block ×4, first 2 shown]
	v_add_f64 v[66:67], v[62:63], -v[78:79]
	v_fma_f64 v[76:77], s[6:7], v[74:75], v[70:71]
	v_fma_f64 v[78:79], s[6:7], v[68:69], v[72:73]
	v_add_f64 v[82:83], v[86:87], v[88:89]
	v_fma_f64 v[88:89], s[10:11], v[84:85], v[104:105]
	v_fma_f64 v[90:91], s[10:11], v[108:109], v[106:107]
	v_add_f64 v[64:65], v[60:61], -v[64:65]
	v_fmac_f64_e32 v[76:77], s[6:7], v[68:69]
	v_fmac_f64_e32 v[78:79], s[10:11], v[74:75]
	v_add_f64 v[80:81], v[102:103], -v[80:81]
	v_fmac_f64_e32 v[88:89], s[6:7], v[108:109]
	v_fmac_f64_e32 v[90:91], s[10:11], v[84:85]
	v_fma_f64 v[60:61], v[60:61], 2.0, -v[64:65]
	v_fma_f64 v[62:63], v[62:63], 2.0, -v[66:67]
	;; [unrolled: 1-line block ×8, first 2 shown]
	ds_write_b128 v100, v[60:63]
	ds_write_b128 v100, v[68:71] offset:256
	ds_write_b128 v100, v[72:75] offset:512
	ds_write_b128 v100, v[84:87] offset:768
	ds_write_b128 v100, v[64:67] offset:1024
	ds_write_b128 v100, v[76:79] offset:1280
	ds_write_b128 v100, v[80:83] offset:1536
	ds_write_b128 v100, v[88:91] offset:1792
	s_waitcnt lgkmcnt(0)
	s_barrier
	s_and_saveexec_b64 s[4:5], vcc
	s_cbranch_execz .LBB0_9
; %bb.8:
	global_load_dwordx4 v[106:109], v95, s[8:9] offset:2048
	ds_read_b128 v[102:105], v100
	s_add_u32 s6, s8, 0x800
	s_addc_u32 s7, s9, 0
	s_waitcnt vmcnt(0) lgkmcnt(0)
	v_mul_f64 v[110:111], v[104:105], v[108:109]
	v_mul_f64 v[112:113], v[102:103], v[108:109]
	v_fma_f64 v[110:111], v[102:103], v[106:107], -v[110:111]
	v_fmac_f64_e32 v[112:113], v[104:105], v[106:107]
	global_load_dwordx4 v[106:109], v95, s[6:7] offset:128
	ds_write_b128 v100, v[110:113]
	ds_read_b128 v[102:105], v94 offset:128
	s_waitcnt vmcnt(0) lgkmcnt(0)
	v_mul_f64 v[110:111], v[104:105], v[108:109]
	v_mul_f64 v[112:113], v[102:103], v[108:109]
	v_fma_f64 v[110:111], v[102:103], v[106:107], -v[110:111]
	v_fmac_f64_e32 v[112:113], v[104:105], v[106:107]
	global_load_dwordx4 v[106:109], v95, s[6:7] offset:256
	ds_read_b128 v[102:105], v94 offset:256
	ds_write_b128 v94, v[110:113] offset:128
	s_waitcnt vmcnt(0) lgkmcnt(1)
	v_mul_f64 v[110:111], v[104:105], v[108:109]
	v_mul_f64 v[112:113], v[102:103], v[108:109]
	v_fma_f64 v[110:111], v[102:103], v[106:107], -v[110:111]
	v_fmac_f64_e32 v[112:113], v[104:105], v[106:107]
	global_load_dwordx4 v[106:109], v95, s[6:7] offset:384
	ds_read_b128 v[102:105], v94 offset:384
	ds_write_b128 v94, v[110:113] offset:256
	;; [unrolled: 8-line block ×14, first 2 shown]
	s_waitcnt vmcnt(0) lgkmcnt(1)
	v_mul_f64 v[110:111], v[104:105], v[108:109]
	v_mul_f64 v[112:113], v[102:103], v[108:109]
	v_fma_f64 v[110:111], v[102:103], v[106:107], -v[110:111]
	v_fmac_f64_e32 v[112:113], v[104:105], v[106:107]
	ds_write_b128 v94, v[110:113] offset:1920
.LBB0_9:
	s_or_b64 exec, exec, s[4:5]
	s_waitcnt lgkmcnt(0)
	s_barrier
	s_and_saveexec_b64 s[4:5], vcc
	s_cbranch_execz .LBB0_11
; %bb.10:
	ds_read_b128 v[60:63], v100
	ds_read_b128 v[68:71], v100 offset:128
	ds_read_b128 v[72:75], v100 offset:256
	;; [unrolled: 1-line block ×15, first 2 shown]
.LBB0_11:
	s_or_b64 exec, exec, s[4:5]
	s_waitcnt lgkmcnt(0)
	s_barrier
	s_and_saveexec_b64 s[4:5], vcc
	s_cbranch_execz .LBB0_13
; %bb.12:
	v_add_f64 v[104:105], v[62:63], -v[30:31]
	v_add_f64 v[38:39], v[66:67], -v[38:39]
	;; [unrolled: 1-line block ×6, first 2 shown]
	v_add_f64 v[130:131], v[128:129], v[38:39]
	v_fma_f64 v[62:63], v[62:63], 2.0, -v[104:105]
	v_fma_f64 v[38:39], v[66:67], 2.0, -v[38:39]
	v_add_f64 v[114:115], v[70:71], -v[34:35]
	v_add_f64 v[50:51], v[78:79], -v[50:51]
	;; [unrolled: 1-line block ×3, first 2 shown]
	v_fma_f64 v[66:67], v[72:73], 2.0, -v[110:111]
	v_fma_f64 v[38:39], v[80:81], 2.0, -v[42:43]
	v_add_f64 v[46:47], v[86:87], -v[46:47]
	v_add_f64 v[40:41], v[88:89], -v[56:57]
	;; [unrolled: 1-line block ×4, first 2 shown]
	v_fma_f64 v[70:71], v[70:71], 2.0, -v[114:115]
	v_fma_f64 v[38:39], v[78:79], 2.0, -v[50:51]
	v_add_f64 v[36:37], v[64:65], -v[36:37]
	s_mov_b32 s6, 0x667f3bcd
	v_add_f64 v[54:55], v[82:83], -v[54:55]
	v_add_f64 v[56:57], v[46:47], -v[40:41]
	;; [unrolled: 1-line block ×6, first 2 shown]
	v_fma_f64 v[38:39], v[88:89], 2.0, -v[40:41]
	v_fma_f64 v[86:87], v[86:87], 2.0, -v[46:47]
	;; [unrolled: 1-line block ×3, first 2 shown]
	v_add_f64 v[52:53], v[102:103], -v[42:43]
	v_add_f64 v[106:107], v[104:105], -v[36:37]
	s_mov_b32 s7, 0x3fe6a09e
	v_add_f64 v[112:113], v[54:55], v[110:111]
	v_add_f64 v[120:121], v[58:59], v[44:45]
	v_add_f64 v[90:91], v[86:87], -v[40:41]
	v_fma_f64 v[58:59], v[68:69], 2.0, -v[122:123]
	v_fma_f64 v[40:41], v[76:77], 2.0, -v[48:49]
	s_mov_b32 s11, 0xbfe6a09e
	s_mov_b32 s10, s6
	v_add_f64 v[116:117], v[114:115], -v[48:49]
	v_add_f64 v[124:125], v[50:51], v[122:123]
	v_fma_f64 v[132:133], s[6:7], v[112:113], v[130:131]
	v_add_f64 v[68:69], v[58:59], -v[40:41]
	v_fma_f64 v[74:75], v[74:75], 2.0, -v[102:103]
	v_fma_f64 v[40:41], v[82:83], 2.0, -v[54:55]
	;; [unrolled: 1-line block ×4, first 2 shown]
	v_fma_f64 v[108:109], s[6:7], v[52:53], v[106:107]
	v_fma_f64 v[118:119], s[6:7], v[56:57], v[116:117]
	v_fmac_f64_e32 v[132:133], s[6:7], v[52:53]
	v_fma_f64 v[84:85], v[84:85], 2.0, -v[44:45]
	v_add_f64 v[54:55], v[74:75], -v[40:41]
	v_fma_f64 v[60:61], v[60:61], 2.0, -v[128:129]
	v_fma_f64 v[36:37], v[64:65], 2.0, -v[36:37]
	v_fma_f64 v[102:103], s[10:11], v[48:49], v[104:105]
	v_fma_f64 v[52:53], v[110:111], 2.0, -v[112:113]
	v_fma_f64 v[110:111], v[114:115], 2.0, -v[116:117]
	;; [unrolled: 1-line block ×4, first 2 shown]
	v_fmac_f64_e32 v[108:109], s[10:11], v[112:113]
	v_fmac_f64_e32 v[118:119], s[10:11], v[120:121]
	v_fma_f64 v[126:127], s[6:7], v[120:121], v[124:125]
	s_mov_b32 s14, 0xa6aea964
	v_add_f64 v[88:89], v[84:85], -v[38:39]
	v_add_f64 v[82:83], v[60:61], -v[36:37]
	v_fmac_f64_e32 v[102:103], s[10:11], v[52:53]
	v_fma_f64 v[128:129], s[10:11], v[52:53], v[122:123]
	v_fma_f64 v[140:141], v[62:63], 2.0, -v[134:135]
	v_fma_f64 v[52:53], v[74:75], 2.0, -v[54:55]
	s_mov_b32 s18, 0xcf328d46
	v_fmac_f64_e32 v[126:127], s[6:7], v[56:57]
	s_mov_b32 s15, 0xbfd87de2
	v_add_f64 v[136:137], v[78:79], -v[88:89]
	v_add_f64 v[142:143], v[140:141], -v[52:53]
	v_fma_f64 v[52:53], v[84:85], 2.0, -v[88:89]
	v_fma_f64 v[88:89], v[60:61], 2.0, -v[82:83]
	;; [unrolled: 1-line block ×4, first 2 shown]
	s_mov_b32 s19, 0x3fed906b
	s_mov_b32 s21, 0xbfed906b
	;; [unrolled: 1-line block ×3, first 2 shown]
	v_fma_f64 v[144:145], v[58:59], 2.0, -v[68:69]
	v_fma_f64 v[148:149], v[70:71], 2.0, -v[78:79]
	v_fma_f64 v[62:63], s[14:15], v[64:65], v[60:61]
	v_fma_f64 v[70:71], v[124:125], 2.0, -v[126:127]
	v_add_f64 v[80:81], v[134:135], -v[72:73]
	v_add_f64 v[84:85], v[144:145], -v[52:53]
	v_fma_f64 v[52:53], v[66:67], 2.0, -v[72:73]
	v_fmac_f64_e32 v[62:63], s[20:21], v[70:71]
	v_fma_f64 v[72:73], v[130:131], 2.0, -v[132:133]
	v_fma_f64 v[66:67], v[60:61], 2.0, -v[62:63]
	v_fma_f64 v[60:61], s[14:15], v[70:71], v[72:73]
	v_fmac_f64_e32 v[60:61], s[18:19], v[64:65]
	v_add_f64 v[76:77], v[90:91], v[68:69]
	v_fma_f64 v[64:65], v[72:73], 2.0, -v[60:61]
	v_fma_f64 v[72:73], v[134:135], 2.0, -v[80:81]
	;; [unrolled: 1-line block ×4, first 2 shown]
	v_fma_f64 v[70:71], s[10:11], v[78:79], v[72:73]
	v_fma_f64 v[68:69], v[68:69], 2.0, -v[76:77]
	v_fma_f64 v[38:39], s[6:7], v[136:137], v[80:81]
	v_add_f64 v[138:139], v[82:83], v[54:55]
	v_fma_f64 v[112:113], s[10:11], v[50:51], v[110:111]
	v_fma_f64 v[44:45], v[44:45], 2.0, -v[120:121]
	v_fmac_f64_e32 v[70:71], s[10:11], v[68:69]
	s_mov_b32 s16, s14
	v_fmac_f64_e32 v[38:39], s[10:11], v[76:77]
	v_fmac_f64_e32 v[112:113], s[10:11], v[44:45]
	v_fma_f64 v[120:121], s[10:11], v[44:45], v[114:115]
	v_fma_f64 v[74:75], v[72:73], 2.0, -v[70:71]
	v_fma_f64 v[72:73], v[82:83], 2.0, -v[138:139]
	;; [unrolled: 1-line block ×3, first 2 shown]
	v_fma_f64 v[36:37], s[6:7], v[76:77], v[138:139]
	v_fma_f64 v[46:47], s[16:17], v[112:113], v[102:103]
	v_fmac_f64_e32 v[120:121], s[6:7], v[50:51]
	v_fma_f64 v[68:69], s[10:11], v[68:69], v[72:73]
	v_fma_f64 v[76:77], v[104:105], 2.0, -v[102:103]
	v_fma_f64 v[80:81], v[110:111], 2.0, -v[112:113]
	v_fmac_f64_e32 v[46:47], s[20:21], v[120:121]
	v_fmac_f64_e32 v[128:129], s[6:7], v[48:49]
	v_add_f64 v[146:147], v[88:89], -v[52:53]
	v_fma_f64 v[52:53], v[86:87], 2.0, -v[90:91]
	v_fmac_f64_e32 v[68:69], s[6:7], v[78:79]
	v_fma_f64 v[78:79], s[20:21], v[80:81], v[76:77]
	v_fma_f64 v[90:91], v[114:115], 2.0, -v[120:121]
	v_fma_f64 v[50:51], v[102:103], 2.0, -v[46:47]
	v_add_f64 v[86:87], v[148:149], -v[52:53]
	v_fmac_f64_e32 v[78:79], s[14:15], v[90:91]
	v_fma_f64 v[102:103], v[122:123], 2.0, -v[128:129]
	v_add_f64 v[54:55], v[142:143], -v[84:85]
	v_add_f64 v[52:53], v[146:147], v[86:87]
	v_fma_f64 v[82:83], v[76:77], 2.0, -v[78:79]
	v_fma_f64 v[76:77], s[20:21], v[90:91], v[102:103]
	v_fma_f64 v[90:91], v[140:141], 2.0, -v[142:143]
	v_fma_f64 v[86:87], v[148:149], 2.0, -v[86:87]
	;; [unrolled: 1-line block ×4, first 2 shown]
	v_fma_f64 v[30:31], s[18:19], v[118:119], v[108:109]
	v_fma_f64 v[28:29], s[18:19], v[126:127], v[132:133]
	;; [unrolled: 1-line block ×3, first 2 shown]
	v_add_f64 v[86:87], v[90:91], -v[86:87]
	v_add_f64 v[84:85], v[88:89], -v[84:85]
	v_fmac_f64_e32 v[30:31], s[14:15], v[126:127]
	v_fmac_f64_e32 v[28:29], s[16:17], v[118:119]
	;; [unrolled: 1-line block ×5, first 2 shown]
	v_fma_f64 v[90:91], v[90:91], 2.0, -v[86:87]
	v_fma_f64 v[88:89], v[88:89], 2.0, -v[84:85]
	v_lshl_or_b32 v101, v93, 8, v101
	v_fma_f64 v[34:35], v[108:109], 2.0, -v[30:31]
	v_fma_f64 v[32:33], v[132:133], 2.0, -v[28:29]
	;; [unrolled: 1-line block ×8, first 2 shown]
	ds_write_b128 v101, v[88:91]
	ds_write_b128 v101, v[80:83] offset:16
	ds_write_b128 v101, v[72:75] offset:32
	;; [unrolled: 1-line block ×15, first 2 shown]
.LBB0_13:
	s_or_b64 exec, exec, s[4:5]
	s_waitcnt lgkmcnt(0)
	s_barrier
	ds_read_b128 v[28:31], v100
	ds_read_b128 v[32:35], v100 offset:256
	ds_read_b128 v[36:39], v100 offset:512
	;; [unrolled: 1-line block ×7, first 2 shown]
	s_waitcnt lgkmcnt(6)
	v_mul_f64 v[60:61], v[22:23], v[34:35]
	v_mul_f64 v[22:23], v[22:23], v[32:33]
	v_fmac_f64_e32 v[60:61], v[20:21], v[32:33]
	v_fma_f64 v[20:21], v[20:21], v[34:35], -v[22:23]
	s_waitcnt lgkmcnt(5)
	v_mul_f64 v[22:23], v[10:11], v[38:39]
	v_mul_f64 v[10:11], v[10:11], v[36:37]
	v_fmac_f64_e32 v[22:23], v[8:9], v[36:37]
	v_fma_f64 v[8:9], v[8:9], v[38:39], -v[10:11]
	;; [unrolled: 5-line block ×6, first 2 shown]
	s_waitcnt lgkmcnt(0)
	v_mul_f64 v[18:19], v[14:15], v[58:59]
	v_fmac_f64_e32 v[18:19], v[12:13], v[56:57]
	v_mul_f64 v[14:15], v[14:15], v[56:57]
	v_fma_f64 v[12:13], v[12:13], v[58:59], -v[14:15]
	v_add_f64 v[6:7], v[28:29], -v[6:7]
	v_add_f64 v[0:1], v[30:31], -v[0:1]
	;; [unrolled: 1-line block ×6, first 2 shown]
	v_fma_f64 v[14:15], v[28:29], 2.0, -v[6:7]
	v_fma_f64 v[28:29], v[30:31], 2.0, -v[0:1]
	;; [unrolled: 1-line block ×4, first 2 shown]
	v_add_f64 v[24:25], v[20:21], -v[24:25]
	v_fma_f64 v[30:31], v[60:61], 2.0, -v[2:3]
	v_add_f64 v[12:13], v[4:5], -v[12:13]
	v_fma_f64 v[10:11], v[10:11], 2.0, -v[18:19]
	v_fma_f64 v[20:21], v[20:21], 2.0, -v[24:25]
	v_fma_f64 v[4:5], v[4:5], 2.0, -v[12:13]
	v_add_f64 v[22:23], v[14:15], -v[22:23]
	v_add_f64 v[32:33], v[28:29], -v[8:9]
	;; [unrolled: 1-line block ×5, first 2 shown]
	s_mov_b32 s4, 0x667f3bcd
	v_fma_f64 v[8:9], v[14:15], 2.0, -v[22:23]
	v_fma_f64 v[14:15], v[28:29], 2.0, -v[32:33]
	v_add_f64 v[28:29], v[6:7], v[16:17]
	v_fma_f64 v[26:27], v[0:1], 2.0, -v[34:35]
	v_add_f64 v[38:39], v[20:21], -v[4:5]
	v_fma_f64 v[0:1], v[30:31], 2.0, -v[36:37]
	v_add_f64 v[30:31], v[2:3], v[12:13]
	v_fma_f64 v[18:19], v[24:25], 2.0, -v[40:41]
	s_mov_b32 s5, 0xbfe6a09e
	v_fma_f64 v[16:17], v[6:7], 2.0, -v[28:29]
	v_fma_f64 v[4:5], v[20:21], 2.0, -v[38:39]
	;; [unrolled: 1-line block ×3, first 2 shown]
	v_add_f64 v[0:1], v[8:9], -v[0:1]
	v_fma_f64 v[10:11], s[4:5], v[18:19], v[26:27]
	v_add_f64 v[2:3], v[14:15], -v[4:5]
	v_fma_f64 v[4:5], v[8:9], 2.0, -v[0:1]
	v_fma_f64 v[8:9], s[4:5], v[12:13], v[16:17]
	s_mov_b32 s7, 0x3fe6a09e
	s_mov_b32 s6, s4
	v_fmac_f64_e32 v[10:11], s[4:5], v[12:13]
	v_fma_f64 v[6:7], v[14:15], 2.0, -v[2:3]
	v_fmac_f64_e32 v[8:9], s[6:7], v[18:19]
	v_fma_f64 v[14:15], v[26:27], 2.0, -v[10:11]
	v_fma_f64 v[24:25], s[6:7], v[30:31], v[28:29]
	v_fma_f64 v[26:27], s[6:7], v[40:41], v[34:35]
	v_fma_f64 v[12:13], v[16:17], 2.0, -v[8:9]
	v_add_f64 v[16:17], v[22:23], v[38:39]
	v_add_f64 v[18:19], v[32:33], -v[36:37]
	v_fmac_f64_e32 v[24:25], s[6:7], v[40:41]
	v_fmac_f64_e32 v[26:27], s[4:5], v[30:31]
	v_fma_f64 v[20:21], v[22:23], 2.0, -v[16:17]
	v_fma_f64 v[22:23], v[32:33], 2.0, -v[18:19]
	;; [unrolled: 1-line block ×4, first 2 shown]
	ds_write_b128 v100, v[4:7]
	ds_write_b128 v100, v[12:15] offset:256
	ds_write_b128 v100, v[20:23] offset:512
	;; [unrolled: 1-line block ×7, first 2 shown]
	s_waitcnt lgkmcnt(0)
	s_barrier
	s_and_b64 exec, exec, vcc
	s_cbranch_execz .LBB0_15
; %bb.14:
	global_load_dwordx4 v[0:3], v95, s[8:9]
	global_load_dwordx4 v[4:7], v95, s[8:9] offset:128
	global_load_dwordx4 v[12:15], v95, s[8:9] offset:256
	;; [unrolled: 1-line block ×5, first 2 shown]
	ds_read_b128 v[42:45], v100
	ds_read_b128 v[46:49], v94 offset:128
	ds_read_b128 v[50:53], v94 offset:256
	;; [unrolled: 1-line block ×4, first 2 shown]
	global_load_dwordx4 v[24:27], v95, s[8:9] offset:768
	ds_read_b128 v[62:65], v94 offset:640
	global_load_dwordx4 v[20:23], v95, s[8:9] offset:896
	global_load_dwordx4 v[16:19], v95, s[8:9] offset:1024
	global_load_dwordx4 v[8:11], v95, s[8:9] offset:1152
	v_mad_u64_u32 v[66:67], s[4:5], s2, v92, 0
	v_mad_u64_u32 v[68:69], s[4:5], s0, v93, 0
	v_mov_b32_e32 v74, v67
	v_mad_u64_u32 v[70:71], s[4:5], s0, v98, 0
	v_mad_u64_u32 v[72:73], s[6:7], s0, v99, 0
	v_mov_b32_e32 v76, v69
	v_mad_u64_u32 v[74:75], s[2:3], s3, v92, v[74:75]
	v_mov_b32_e32 v36, s12
	v_mov_b32_e32 v37, s13
	;; [unrolled: 1-line block ×4, first 2 shown]
	v_mad_u64_u32 v[76:77], s[2:3], s1, v93, v[76:77]
	v_mov_b32_e32 v67, v74
	v_mad_u64_u32 v[78:79], s[2:3], s1, v98, v[78:79]
	v_mad_u64_u32 v[80:81], s[2:3], s1, v99, v[80:81]
	v_mov_b32_e32 v69, v76
	v_lshl_add_u64 v[36:37], v[66:67], 4, v[36:37]
	s_lshl_b64 s[4:5], s[0:1], 8
	v_mov_b32_e32 v71, v78
	v_mov_b32_e32 v73, v80
	v_lshl_add_u64 v[66:67], v[68:69], 4, v[36:37]
	v_lshl_add_u64 v[68:69], v[70:71], 4, v[36:37]
	;; [unrolled: 1-line block ×5, first 2 shown]
	s_waitcnt vmcnt(9) lgkmcnt(5)
	v_mul_f64 v[76:77], v[44:45], v[2:3]
	v_mul_f64 v[2:3], v[42:43], v[2:3]
	s_waitcnt vmcnt(8) lgkmcnt(4)
	v_mul_f64 v[78:79], v[48:49], v[6:7]
	s_waitcnt vmcnt(6) lgkmcnt(2)
	v_mul_f64 v[82:83], v[56:57], v[34:35]
	v_mul_f64 v[34:35], v[54:55], v[34:35]
	;; [unrolled: 1-line block ×5, first 2 shown]
	s_waitcnt vmcnt(5) lgkmcnt(1)
	v_mul_f64 v[84:85], v[60:61], v[40:41]
	v_mul_f64 v[40:41], v[58:59], v[40:41]
	v_fmac_f64_e32 v[76:77], v[42:43], v[0:1]
	v_fma_f64 v[2:3], v[0:1], v[44:45], -v[2:3]
	v_fmac_f64_e32 v[82:83], v[54:55], v[32:33]
	v_fma_f64 v[42:43], v[32:33], v[56:57], -v[34:35]
	global_load_dwordx4 v[32:35], v95, s[8:9] offset:1280
	v_fmac_f64_e32 v[78:79], v[46:47], v[4:5]
	v_fma_f64 v[6:7], v[4:5], v[48:49], -v[6:7]
	v_fmac_f64_e32 v[80:81], v[50:51], v[12:13]
	v_fma_f64 v[14:15], v[12:13], v[52:53], -v[14:15]
	v_fmac_f64_e32 v[84:85], v[58:59], v[38:39]
	v_fma_f64 v[44:45], v[38:39], v[60:61], -v[40:41]
	v_ldexp_f64 v[0:1], v[76:77], -7
	v_ldexp_f64 v[2:3], v[2:3], -7
	;; [unrolled: 1-line block ×10, first 2 shown]
	global_store_dwordx4 v[66:67], v[0:3], off
	global_store_dwordx4 v[68:69], v[4:7], off
	;; [unrolled: 1-line block ×5, first 2 shown]
	global_load_dwordx4 v[0:3], v95, s[8:9] offset:1408
	ds_read_b128 v[4:7], v94 offset:768
	s_waitcnt vmcnt(11) lgkmcnt(1)
	v_mul_f64 v[12:13], v[64:65], v[30:31]
	v_mul_f64 v[14:15], v[62:63], v[30:31]
	v_mad_u64_u32 v[38:39], s[2:3], s0, v97, 0
	v_fmac_f64_e32 v[12:13], v[62:63], v[28:29]
	v_fma_f64 v[14:15], v[28:29], v[64:65], -v[14:15]
	v_mov_b32_e32 v28, v39
	v_mad_u64_u32 v[28:29], s[2:3], s1, v97, v[28:29]
	v_mov_b32_e32 v39, v28
	global_load_dwordx4 v[28:31], v95, s[8:9] offset:1536
	v_ldexp_f64 v[12:13], v[12:13], -7
	v_ldexp_f64 v[14:15], v[14:15], -7
	v_lshl_add_u64 v[38:39], v[38:39], 4, v[36:37]
	global_store_dwordx4 v[38:39], v[12:15], off
	v_lshl_add_u64 v[42:43], v[74:75], 0, s[4:5]
	v_or_b32_e32 v44, 0x48, v93
	s_waitcnt vmcnt(12) lgkmcnt(0)
	v_mul_f64 v[12:13], v[6:7], v[26:27]
	v_fmac_f64_e32 v[12:13], v[4:5], v[24:25]
	v_mul_f64 v[4:5], v[4:5], v[26:27]
	v_fma_f64 v[4:5], v[24:25], v[6:7], -v[4:5]
	v_ldexp_f64 v[14:15], v[4:5], -7
	ds_read_b128 v[4:7], v94 offset:896
	global_load_dwordx4 v[24:27], v95, s[8:9] offset:1664
	v_ldexp_f64 v[12:13], v[12:13], -7
	global_store_dwordx4 v[42:43], v[12:15], off
	ds_read_b128 v[12:15], v94 offset:1024
	s_waitcnt vmcnt(13) lgkmcnt(1)
	v_mul_f64 v[38:39], v[6:7], v[22:23]
	v_fmac_f64_e32 v[38:39], v[4:5], v[20:21]
	v_mul_f64 v[4:5], v[4:5], v[22:23]
	v_fma_f64 v[4:5], v[20:21], v[6:7], -v[4:5]
	v_mad_u64_u32 v[20:21], s[2:3], s0, v96, 0
	v_ldexp_f64 v[40:41], v[4:5], -7
	v_mov_b32_e32 v4, v21
	v_mad_u64_u32 v[22:23], s[2:3], s1, v96, v[4:5]
	global_load_dwordx4 v[4:7], v95, s[8:9] offset:1792
	v_mov_b32_e32 v21, v22
	v_ldexp_f64 v[38:39], v[38:39], -7
	v_lshl_add_u64 v[20:21], v[20:21], 4, v[36:37]
	global_store_dwordx4 v[20:21], v[38:41], off
	s_waitcnt vmcnt(14) lgkmcnt(0)
	v_mul_f64 v[20:21], v[14:15], v[18:19]
	v_fmac_f64_e32 v[20:21], v[12:13], v[16:17]
	v_mul_f64 v[12:13], v[12:13], v[18:19]
	v_fma_f64 v[12:13], v[16:17], v[14:15], -v[12:13]
	v_ldexp_f64 v[22:23], v[12:13], -7
	global_load_dwordx4 v[12:15], v95, s[8:9] offset:1920
	ds_read_b128 v[16:19], v94 offset:1152
	v_ldexp_f64 v[20:21], v[20:21], -7
	v_lshl_add_u64 v[42:43], v[42:43], 0, s[4:5]
	global_store_dwordx4 v[42:43], v[20:23], off
	ds_read_b128 v[20:23], v94 offset:1280
	s_waitcnt vmcnt(15) lgkmcnt(1)
	v_mul_f64 v[38:39], v[18:19], v[10:11]
	v_mul_f64 v[10:11], v[16:17], v[10:11]
	v_fmac_f64_e32 v[38:39], v[16:17], v[8:9]
	v_fma_f64 v[8:9], v[8:9], v[18:19], -v[10:11]
	v_ldexp_f64 v[40:41], v[8:9], -7
	v_mad_u64_u32 v[8:9], s[2:3], s0, v44, 0
	v_mov_b32_e32 v10, v9
	v_mad_u64_u32 v[10:11], s[2:3], s1, v44, v[10:11]
	v_mov_b32_e32 v9, v10
	ds_read_b128 v[16:19], v94 offset:1408
	v_ldexp_f64 v[38:39], v[38:39], -7
	v_lshl_add_u64 v[8:9], v[8:9], 4, v[36:37]
	global_store_dwordx4 v[8:9], v[38:41], off
	s_waitcnt vmcnt(15) lgkmcnt(1)
	v_mul_f64 v[8:9], v[22:23], v[34:35]
	v_mul_f64 v[10:11], v[20:21], v[34:35]
	v_fmac_f64_e32 v[8:9], v[20:21], v[32:33]
	v_fma_f64 v[10:11], v[32:33], v[22:23], -v[10:11]
	v_ldexp_f64 v[8:9], v[8:9], -7
	v_ldexp_f64 v[10:11], v[10:11], -7
	v_lshl_add_u64 v[32:33], v[42:43], 0, s[4:5]
	global_store_dwordx4 v[32:33], v[8:11], off
	ds_read_b128 v[8:11], v94 offset:1536
	v_or_b32_e32 v34, 0x58, v93
	s_waitcnt vmcnt(10) lgkmcnt(1)
	v_mul_f64 v[20:21], v[18:19], v[2:3]
	v_mul_f64 v[2:3], v[16:17], v[2:3]
	v_fmac_f64_e32 v[20:21], v[16:17], v[0:1]
	v_fma_f64 v[0:1], v[0:1], v[18:19], -v[2:3]
	v_ldexp_f64 v[22:23], v[0:1], -7
	v_mad_u64_u32 v[0:1], s[2:3], s0, v34, 0
	v_mov_b32_e32 v2, v1
	v_mad_u64_u32 v[2:3], s[2:3], s1, v34, v[2:3]
	v_mov_b32_e32 v1, v2
	v_ldexp_f64 v[20:21], v[20:21], -7
	v_lshl_add_u64 v[0:1], v[0:1], 4, v[36:37]
	global_store_dwordx4 v[0:1], v[20:23], off
	s_waitcnt vmcnt(10) lgkmcnt(0)
	v_mul_f64 v[0:1], v[10:11], v[30:31]
	v_mul_f64 v[2:3], v[8:9], v[30:31]
	v_fmac_f64_e32 v[0:1], v[8:9], v[28:29]
	v_fma_f64 v[2:3], v[28:29], v[10:11], -v[2:3]
	ds_read_b128 v[8:11], v94 offset:1664
	v_ldexp_f64 v[0:1], v[0:1], -7
	v_ldexp_f64 v[2:3], v[2:3], -7
	v_lshl_add_u64 v[20:21], v[32:33], 0, s[4:5]
	global_store_dwordx4 v[20:21], v[0:3], off
	ds_read_b128 v[0:3], v94 offset:1792
	v_or_b32_e32 v22, 0x68, v93
	s_waitcnt vmcnt(9) lgkmcnt(1)
	v_mul_f64 v[16:17], v[10:11], v[26:27]
	v_fmac_f64_e32 v[16:17], v[8:9], v[24:25]
	v_mul_f64 v[8:9], v[8:9], v[26:27]
	v_fma_f64 v[8:9], v[24:25], v[10:11], -v[8:9]
	v_ldexp_f64 v[18:19], v[8:9], -7
	v_mad_u64_u32 v[8:9], s[2:3], s0, v22, 0
	v_mov_b32_e32 v10, v9
	v_mad_u64_u32 v[10:11], s[2:3], s1, v22, v[10:11]
	v_mov_b32_e32 v9, v10
	v_ldexp_f64 v[16:17], v[16:17], -7
	v_lshl_add_u64 v[8:9], v[8:9], 4, v[36:37]
	global_store_dwordx4 v[8:9], v[16:19], off
	s_waitcnt vmcnt(8) lgkmcnt(0)
	v_mul_f64 v[8:9], v[2:3], v[6:7]
	v_fmac_f64_e32 v[8:9], v[0:1], v[4:5]
	v_mul_f64 v[0:1], v[0:1], v[6:7]
	v_fma_f64 v[4:5], v[4:5], v[2:3], -v[0:1]
	ds_read_b128 v[0:3], v94 offset:1920
	v_ldexp_f64 v[8:9], v[8:9], -7
	v_ldexp_f64 v[10:11], v[4:5], -7
	v_lshl_add_u64 v[4:5], v[20:21], 0, s[4:5]
	global_store_dwordx4 v[4:5], v[8:11], off
	s_waitcnt vmcnt(7) lgkmcnt(0)
	v_mul_f64 v[4:5], v[2:3], v[14:15]
	v_fmac_f64_e32 v[4:5], v[0:1], v[12:13]
	v_mul_f64 v[0:1], v[0:1], v[14:15]
	v_or_b32_e32 v8, 0x78, v93
	v_fma_f64 v[0:1], v[12:13], v[2:3], -v[0:1]
	v_ldexp_f64 v[6:7], v[0:1], -7
	v_mad_u64_u32 v[0:1], s[2:3], s0, v8, 0
	v_mov_b32_e32 v2, v1
	v_mad_u64_u32 v[2:3], s[0:1], s1, v8, v[2:3]
	v_mov_b32_e32 v1, v2
	v_ldexp_f64 v[4:5], v[4:5], -7
	v_lshl_add_u64 v[0:1], v[0:1], 4, v[36:37]
	global_store_dwordx4 v[0:1], v[4:7], off
.LBB0_15:
	s_endpgm
	.section	.rodata,"a",@progbits
	.p2align	6, 0x0
	.amdhsa_kernel bluestein_single_fwd_len128_dim1_dp_op_CI_CI
		.amdhsa_group_segment_fixed_size 32768
		.amdhsa_private_segment_fixed_size 0
		.amdhsa_kernarg_size 104
		.amdhsa_user_sgpr_count 2
		.amdhsa_user_sgpr_dispatch_ptr 0
		.amdhsa_user_sgpr_queue_ptr 0
		.amdhsa_user_sgpr_kernarg_segment_ptr 1
		.amdhsa_user_sgpr_dispatch_id 0
		.amdhsa_user_sgpr_kernarg_preload_length 0
		.amdhsa_user_sgpr_kernarg_preload_offset 0
		.amdhsa_user_sgpr_private_segment_size 0
		.amdhsa_uses_dynamic_stack 0
		.amdhsa_enable_private_segment 0
		.amdhsa_system_sgpr_workgroup_id_x 1
		.amdhsa_system_sgpr_workgroup_id_y 0
		.amdhsa_system_sgpr_workgroup_id_z 0
		.amdhsa_system_sgpr_workgroup_info 0
		.amdhsa_system_vgpr_workitem_id 0
		.amdhsa_next_free_vgpr 150
		.amdhsa_next_free_sgpr 22
		.amdhsa_accum_offset 152
		.amdhsa_reserve_vcc 1
		.amdhsa_float_round_mode_32 0
		.amdhsa_float_round_mode_16_64 0
		.amdhsa_float_denorm_mode_32 3
		.amdhsa_float_denorm_mode_16_64 3
		.amdhsa_dx10_clamp 1
		.amdhsa_ieee_mode 1
		.amdhsa_fp16_overflow 0
		.amdhsa_tg_split 0
		.amdhsa_exception_fp_ieee_invalid_op 0
		.amdhsa_exception_fp_denorm_src 0
		.amdhsa_exception_fp_ieee_div_zero 0
		.amdhsa_exception_fp_ieee_overflow 0
		.amdhsa_exception_fp_ieee_underflow 0
		.amdhsa_exception_fp_ieee_inexact 0
		.amdhsa_exception_int_div_zero 0
	.end_amdhsa_kernel
	.text
.Lfunc_end0:
	.size	bluestein_single_fwd_len128_dim1_dp_op_CI_CI, .Lfunc_end0-bluestein_single_fwd_len128_dim1_dp_op_CI_CI
                                        ; -- End function
	.section	.AMDGPU.csdata,"",@progbits
; Kernel info:
; codeLenInByte = 8624
; NumSgprs: 28
; NumVgprs: 150
; NumAgprs: 0
; TotalNumVgprs: 150
; ScratchSize: 0
; MemoryBound: 0
; FloatMode: 240
; IeeeMode: 1
; LDSByteSize: 32768 bytes/workgroup (compile time only)
; SGPRBlocks: 3
; VGPRBlocks: 18
; NumSGPRsForWavesPerEU: 28
; NumVGPRsForWavesPerEU: 150
; AccumOffset: 152
; Occupancy: 3
; WaveLimiterHint : 1
; COMPUTE_PGM_RSRC2:SCRATCH_EN: 0
; COMPUTE_PGM_RSRC2:USER_SGPR: 2
; COMPUTE_PGM_RSRC2:TRAP_HANDLER: 0
; COMPUTE_PGM_RSRC2:TGID_X_EN: 1
; COMPUTE_PGM_RSRC2:TGID_Y_EN: 0
; COMPUTE_PGM_RSRC2:TGID_Z_EN: 0
; COMPUTE_PGM_RSRC2:TIDIG_COMP_CNT: 0
; COMPUTE_PGM_RSRC3_GFX90A:ACCUM_OFFSET: 37
; COMPUTE_PGM_RSRC3_GFX90A:TG_SPLIT: 0
	.text
	.p2alignl 6, 3212836864
	.fill 256, 4, 3212836864
	.type	__hip_cuid_a0cfa646b666905f,@object ; @__hip_cuid_a0cfa646b666905f
	.section	.bss,"aw",@nobits
	.globl	__hip_cuid_a0cfa646b666905f
__hip_cuid_a0cfa646b666905f:
	.byte	0                               ; 0x0
	.size	__hip_cuid_a0cfa646b666905f, 1

	.ident	"AMD clang version 19.0.0git (https://github.com/RadeonOpenCompute/llvm-project roc-6.4.0 25133 c7fe45cf4b819c5991fe208aaa96edf142730f1d)"
	.section	".note.GNU-stack","",@progbits
	.addrsig
	.addrsig_sym __hip_cuid_a0cfa646b666905f
	.amdgpu_metadata
---
amdhsa.kernels:
  - .agpr_count:     0
    .args:
      - .actual_access:  read_only
        .address_space:  global
        .offset:         0
        .size:           8
        .value_kind:     global_buffer
      - .actual_access:  read_only
        .address_space:  global
        .offset:         8
        .size:           8
        .value_kind:     global_buffer
      - .actual_access:  read_only
        .address_space:  global
        .offset:         16
        .size:           8
        .value_kind:     global_buffer
      - .actual_access:  read_only
        .address_space:  global
        .offset:         24
        .size:           8
        .value_kind:     global_buffer
      - .actual_access:  read_only
        .address_space:  global
        .offset:         32
        .size:           8
        .value_kind:     global_buffer
      - .offset:         40
        .size:           8
        .value_kind:     by_value
      - .address_space:  global
        .offset:         48
        .size:           8
        .value_kind:     global_buffer
      - .address_space:  global
        .offset:         56
        .size:           8
        .value_kind:     global_buffer
      - .address_space:  global
        .offset:         64
        .size:           8
        .value_kind:     global_buffer
      - .address_space:  global
        .offset:         72
        .size:           8
        .value_kind:     global_buffer
      - .offset:         80
        .size:           4
        .value_kind:     by_value
      - .address_space:  global
        .offset:         88
        .size:           8
        .value_kind:     global_buffer
      - .address_space:  global
        .offset:         96
        .size:           8
        .value_kind:     global_buffer
    .group_segment_fixed_size: 32768
    .kernarg_segment_align: 8
    .kernarg_segment_size: 104
    .language:       OpenCL C
    .language_version:
      - 2
      - 0
    .max_flat_workgroup_size: 256
    .name:           bluestein_single_fwd_len128_dim1_dp_op_CI_CI
    .private_segment_fixed_size: 0
    .sgpr_count:     28
    .sgpr_spill_count: 0
    .symbol:         bluestein_single_fwd_len128_dim1_dp_op_CI_CI.kd
    .uniform_work_group_size: 1
    .uses_dynamic_stack: false
    .vgpr_count:     150
    .vgpr_spill_count: 0
    .wavefront_size: 64
amdhsa.target:   amdgcn-amd-amdhsa--gfx950
amdhsa.version:
  - 1
  - 2
...

	.end_amdgpu_metadata
